;; amdgpu-corpus repo=ROCm/bitsandbytes kind=harvested arch=n/a opt=n/a
	.text
	.amdgcn_target "amdgcn-amd-amdhsa--gfx90a"
	.amdhsa_code_object_version 6
	.protected	_Z20kDequantizeBlockwiseI12hip_bfloat16Li512ELi64ELi8ELi1EEvPfPhS1_PT_ii ; -- Begin function _Z20kDequantizeBlockwiseI12hip_bfloat16Li512ELi64ELi8ELi1EEvPfPhS1_PT_ii
	.globl	_Z20kDequantizeBlockwiseI12hip_bfloat16Li512ELi64ELi8ELi1EEvPfPhS1_PT_ii
	.p2align	8
	.type	_Z20kDequantizeBlockwiseI12hip_bfloat16Li512ELi64ELi8ELi1EEvPfPhS1_PT_ii,@function
_Z20kDequantizeBlockwiseI12hip_bfloat16Li512ELi64ELi8ELi1EEvPfPhS1_PT_ii: ; @_Z20kDequantizeBlockwiseI12hip_bfloat16Li512ELi64ELi8ELi1EEvPfPhS1_PT_ii
; %bb.0:
	s_load_dword s1, s[4:5], 0x28
	s_lshl_b32 s16, s6, 9
	s_waitcnt lgkmcnt(0)
	s_lshl_b32 s7, s1, 9
	s_cmp_ge_i32 s16, s7
	s_cbranch_scc1 .LBB159_115
; %bb.1:
	s_load_dwordx8 s[8:15], s[4:5], 0x8
	v_mbcnt_lo_u32_b32 v1, -1, 0
	v_lshlrev_b32_e32 v6, 3, v0
	v_mbcnt_hi_u32_b32 v1, -1, v1
	v_and_b32_e32 v2, 0x1e00, v6
	s_waitcnt lgkmcnt(0)
	v_mov_b32_e32 v3, s9
	v_add_co_u32_e32 v4, vcc, s8, v1
	v_addc_co_u32_e32 v3, vcc, 0, v3, vcc
	v_or_b32_e32 v9, v1, v2
	v_add_co_u32_e32 v7, vcc, v4, v2
	v_add_u32_e32 v10, 64, v9
	v_lshrrev_b32_e32 v2, 5, v2
	v_add_u32_e32 v17, v2, v9
	v_lshrrev_b32_e32 v2, 5, v10
	v_or_b32_e32 v11, 0x80, v9
	v_and_b32_e32 v2, 0xf4, v2
	v_add_u32_e32 v18, v2, v10
	v_lshrrev_b32_e32 v2, 5, v11
	v_add_u32_e32 v12, 0xc0, v9
	v_and_b32_e32 v2, 0xf4, v2
	v_add_u32_e32 v19, v2, v11
	v_lshrrev_b32_e32 v2, 5, v12
	v_or_b32_e32 v13, 0x100, v9
	v_and_b32_e32 v2, 0xfc, v2
	v_add_u32_e32 v20, v2, v12
	v_lshrrev_b32_e32 v2, 5, v13
	v_add_u32_e32 v14, 0x140, v9
	v_and_b32_e32 v2, 0xf8, v2
	v_add_u32_e32 v21, v2, v13
	v_lshrrev_b32_e32 v2, 5, v14
	v_or_b32_e32 v15, 0x180, v9
	v_and_b32_e32 v2, 0xfc, v2
	v_add_u32_e32 v22, v2, v14
	v_lshrrev_b32_e32 v2, 5, v15
	v_add_u32_e32 v16, 0x1c0, v9
	v_and_b32_e32 v2, 0xfc, v2
	v_add_u32_e32 v23, v2, v15
	v_lshrrev_b32_e32 v2, 5, v16
	v_and_b32_e32 v2, 0x1fc, v2
	v_add_u32_e32 v24, v2, v16
	v_and_b32_e32 v2, 0x3c0, v0
	v_addc_co_u32_e32 v8, vcc, 0, v3, vcc
	v_add_u32_e32 v3, v1, v2
	v_lshrrev_b32_e32 v4, 2, v3
	v_lshlrev_b32_e32 v0, 4, v0
	v_add_u16_e32 v2, v1, v2
	v_and_b32_e32 v4, 0x1fc, v4
	v_lshrrev_b16_e32 v2, 1, v2
	v_and_b32_e32 v0, 0x3c00, v0
	v_lshl_add_u32 v25, v3, 3, v4
	v_lshlrev_b32_e32 v3, 4, v3
	v_and_b32_e32 v2, 0x3fe, v2
	v_or_b32_e32 v27, v1, v0
	v_add_lshl_u32 v26, v2, v3, 1
	v_lshrrev_b32_e32 v2, 5, v27
	v_and_b32_e32 v2, 0x1e2, v2
	v_add_u32_e32 v29, 64, v27
	v_add_lshl_u32 v28, v2, v27, 1
	v_lshrrev_b32_e32 v2, 5, v29
	v_and_b32_e32 v2, 0x1e6, v2
	v_or_b32_e32 v31, 0x80, v27
	v_add_lshl_u32 v30, v2, v29, 1
	v_lshrrev_b32_e32 v2, 5, v31
	v_and_b32_e32 v2, 0x1e6, v2
	v_add_u32_e32 v33, 0xc0, v27
	v_add_lshl_u32 v32, v2, v31, 1
	v_lshrrev_b32_e32 v2, 5, v33
	;; [unrolled: 8-line block ×7, first 2 shown]
	v_and_b32_e32 v2, 0x1fe, v2
	v_or_b32_e32 v55, 0x380, v27
	v_add_lshl_u32 v54, v2, v53, 1
	v_lshrrev_b32_e32 v2, 5, v55
	v_and_b32_e32 v2, 0x1fe, v2
	v_add_u32_e32 v57, 0x3c0, v27
	s_add_i32 s0, s15, 1
	v_add_lshl_u32 v56, v2, v55, 1
	v_lshrrev_b32_e32 v2, 5, v57
	s_lshr_b32 s3, s0, 31
	v_and_b32_e32 v2, 0x3fe, v2
	v_lshlrev_b32_e32 v1, 1, v1
	s_add_i32 s0, s0, s3
	v_add_lshl_u32 v58, v2, v57, 1
	v_mov_b32_e32 v2, s13
	v_add_co_u32_e32 v1, vcc, s12, v1
	s_flbit_i32_b32 s2, s14
	s_ashr_i32 s0, s0, 1
	v_addc_co_u32_e32 v2, vcc, 0, v2, vcc
	v_lshlrev_b32_e32 v0, 1, v0
	s_min_u32 s2, s2, 32
	v_add_co_u32_e32 v59, vcc, v1, v0
	s_sub_i32 s5, s0, s16
	s_lshl_b32 s0, s6, 10
	s_sub_i32 s4, 31, s2
	v_addc_co_u32_e32 v60, vcc, 0, v2, vcc
	s_sub_i32 s6, s15, s0
	s_lshl_b32 s8, s1, 10
	v_mov_b32_e32 v1, 0
	s_mov_b32 s9, 0xffff
	s_mov_b32 s12, 0x7f800000
	s_movk_i32 s13, 0x7fff
	s_mov_b32 s14, 0x7060302
	v_mov_b32_e32 v61, s11
	v_mov_b32_e32 v62, 2
	;; [unrolled: 1-line block ×4, first 2 shown]
	s_branch .LBB159_3
.LBB159_2:                              ;   in Loop: Header=BB159_3 Depth=1
	s_or_b64 exec, exec, s[2:3]
	s_add_i32 s16, s16, s7
	s_sub_i32 s5, s5, s7
	s_sub_i32 s6, s6, s8
	s_add_i32 s0, s0, s8
	s_cmp_ge_i32 s16, s7
	s_cbranch_scc1 .LBB159_115
.LBB159_3:                              ; =>This Inner Loop Header: Depth=1
	s_waitcnt lgkmcnt(0)
	v_add_u32_e32 v0, s16, v6
	v_lshrrev_b32_e32 v0, s4, v0
	v_lshlrev_b64 v[2:3], 2, v[0:1]
	v_add_co_u32_e32 v2, vcc, s10, v2
	v_addc_co_u32_e32 v3, vcc, v61, v3, vcc
	global_load_dword v0, v[2:3], off
	s_ashr_i32 s2, s16, 31
	v_mov_b32_e32 v3, s2
	v_add_co_u32_e32 v2, vcc, s16, v7
	s_min_i32 s1, s5, 0x200
	v_addc_co_u32_e32 v3, vcc, v8, v3, vcc
	v_cmp_gt_u32_e32 vcc, s1, v9
	v_mov_b32_e32 v4, 0x80
	v_mov_b32_e32 v5, 0x80
	;; [unrolled: 1-line block ×7, first 2 shown]
	s_barrier
	s_and_saveexec_b64 s[2:3], vcc
	s_cbranch_execz .LBB159_5
; %bb.4:                                ;   in Loop: Header=BB159_3 Depth=1
	global_load_ubyte v5, v[2:3], off
	v_mov_b32_e32 v4, 0x80
	v_mov_b32_e32 v65, 0x80
	;; [unrolled: 1-line block ×6, first 2 shown]
.LBB159_5:                              ;   in Loop: Header=BB159_3 Depth=1
	s_or_b64 exec, exec, s[2:3]
	v_cmp_gt_u32_e32 vcc, s1, v10
	v_mov_b32_e32 v70, v4
	s_and_saveexec_b64 s[2:3], vcc
	s_cbranch_execnz .LBB159_93
; %bb.6:                                ;   in Loop: Header=BB159_3 Depth=1
	s_or_b64 exec, exec, s[2:3]
	v_cmp_gt_u32_e32 vcc, s1, v11
	s_and_saveexec_b64 s[2:3], vcc
	s_cbranch_execnz .LBB159_94
.LBB159_7:                              ;   in Loop: Header=BB159_3 Depth=1
	s_or_b64 exec, exec, s[2:3]
	v_cmp_gt_u32_e32 vcc, s1, v12
	s_and_saveexec_b64 s[2:3], vcc
	s_cbranch_execnz .LBB159_95
.LBB159_8:                              ;   in Loop: Header=BB159_3 Depth=1
	s_or_b64 exec, exec, s[2:3]
	v_cmp_gt_u32_e32 vcc, s1, v13
	s_and_saveexec_b64 s[2:3], vcc
	s_cbranch_execnz .LBB159_96
.LBB159_9:                              ;   in Loop: Header=BB159_3 Depth=1
	s_or_b64 exec, exec, s[2:3]
	v_cmp_gt_u32_e32 vcc, s1, v14
	s_and_saveexec_b64 s[2:3], vcc
	s_cbranch_execnz .LBB159_97
.LBB159_10:                             ;   in Loop: Header=BB159_3 Depth=1
	s_or_b64 exec, exec, s[2:3]
	v_cmp_gt_u32_e32 vcc, s1, v15
	s_and_saveexec_b64 s[2:3], vcc
	s_cbranch_execnz .LBB159_98
.LBB159_11:                             ;   in Loop: Header=BB159_3 Depth=1
	s_or_b64 exec, exec, s[2:3]
	v_cmp_gt_u32_e32 vcc, s1, v16
	s_and_saveexec_b64 s[2:3], vcc
	s_cbranch_execz .LBB159_13
.LBB159_12:                             ;   in Loop: Header=BB159_3 Depth=1
	global_load_ubyte v69, v[2:3], off offset:448
.LBB159_13:                             ;   in Loop: Header=BB159_3 Depth=1
	s_or_b64 exec, exec, s[2:3]
	s_waitcnt vmcnt(0)
	ds_write_b8 v17, v5 offset:2112
	ds_write_b8 v18, v70 offset:2112
	;; [unrolled: 1-line block ×8, first 2 shown]
	; wave barrier
	ds_read_b64 v[2:3], v25 offset:2112
	s_getpc_b64 s[2:3]
	s_add_u32 s2, s2, _ZL22fp4_dequantization_lut@rel32@lo+4
	s_addc_u32 s3, s3, _ZL22fp4_dequantization_lut@rel32@hi+12
                                        ; implicit-def: $vgpr65
	s_waitcnt lgkmcnt(0)
	v_lshrrev_b16_e32 v4, 4, v2
	v_and_b32_e32 v4, 15, v4
	v_and_b32_sdwa v5, v4, v63 dst_sel:DWORD dst_unused:UNUSED_PAD src0_sel:WORD_0 src1_sel:DWORD
	v_lshlrev_b32_e32 v5, 2, v5
	global_load_dword v5, v5, s[2:3]
	v_lshrrev_b32_sdwa v4, v62, v4 dst_sel:DWORD dst_unused:UNUSED_PAD src0_sel:DWORD src1_sel:WORD_0
	v_and_b32_e32 v4, 2, v4
	v_cvt_f32_ubyte0_e32 v4, v4
	v_sub_f32_e32 v4, 1.0, v4
	s_waitcnt vmcnt(0)
	v_mul_f32_e32 v4, v4, v5
	v_mul_f32_e32 v4, v0, v4
	v_and_b32_e32 v5, 0x7f800000, v4
	v_cmp_ne_u32_e32 vcc, s12, v5
	s_and_saveexec_b64 s[2:3], vcc
	s_xor_b64 s[2:3], exec, s[2:3]
; %bb.14:                               ;   in Loop: Header=BB159_3 Depth=1
	v_bfe_u32 v5, v4, 16, 1
	v_add3_u32 v65, v4, v5, s13
                                        ; implicit-def: $vgpr4
; %bb.15:                               ;   in Loop: Header=BB159_3 Depth=1
	s_andn2_saveexec_b64 s[2:3], s[2:3]
; %bb.16:                               ;   in Loop: Header=BB159_3 Depth=1
	v_or_b32_e32 v5, 0x10000, v4
	v_cmp_eq_u32_sdwa vcc, v4, v1 src0_sel:WORD_0 src1_sel:DWORD
	v_cndmask_b32_e32 v65, v5, v4, vcc
; %bb.17:                               ;   in Loop: Header=BB159_3 Depth=1
	s_or_b64 exec, exec, s[2:3]
	v_and_b32_e32 v4, 7, v2
	v_lshlrev_b32_e32 v4, 2, v4
	s_getpc_b64 s[2:3]
	s_add_u32 s2, s2, _ZL22fp4_dequantization_lut@rel32@lo+4
	s_addc_u32 s3, s3, _ZL22fp4_dequantization_lut@rel32@hi+12
	global_load_dword v4, v4, s[2:3]
	v_lshrrev_b16_e32 v5, 2, v2
	v_and_b32_e32 v5, 2, v5
	v_cvt_f32_ubyte0_e32 v5, v5
	v_sub_f32_e32 v5, 1.0, v5
                                        ; implicit-def: $vgpr66
	s_waitcnt vmcnt(0)
	v_mul_f32_e32 v4, v5, v4
	v_mul_f32_e32 v4, v0, v4
	v_and_b32_e32 v5, 0x7f800000, v4
	v_cmp_ne_u32_e32 vcc, s12, v5
	s_and_saveexec_b64 s[2:3], vcc
	s_xor_b64 s[2:3], exec, s[2:3]
; %bb.18:                               ;   in Loop: Header=BB159_3 Depth=1
	v_bfe_u32 v5, v4, 16, 1
	v_add3_u32 v66, v4, v5, s13
                                        ; implicit-def: $vgpr4
; %bb.19:                               ;   in Loop: Header=BB159_3 Depth=1
	s_andn2_saveexec_b64 s[2:3], s[2:3]
; %bb.20:                               ;   in Loop: Header=BB159_3 Depth=1
	v_or_b32_e32 v5, 0x10000, v4
	v_cmp_eq_u32_sdwa vcc, v4, v1 src0_sel:WORD_0 src1_sel:DWORD
	v_cndmask_b32_e32 v66, v5, v4, vcc
; %bb.21:                               ;   in Loop: Header=BB159_3 Depth=1
	s_or_b64 exec, exec, s[2:3]
	v_lshrrev_b32_e32 v4, 8, v2
	v_lshrrev_b16_e32 v5, 4, v4
	v_and_b32_e32 v5, 15, v5
	v_and_b32_sdwa v67, v5, v63 dst_sel:DWORD dst_unused:UNUSED_PAD src0_sel:WORD_0 src1_sel:DWORD
	v_lshlrev_b32_e32 v67, 2, v67
	s_getpc_b64 s[2:3]
	s_add_u32 s2, s2, _ZL22fp4_dequantization_lut@rel32@lo+4
	s_addc_u32 s3, s3, _ZL22fp4_dequantization_lut@rel32@hi+12
	global_load_dword v67, v67, s[2:3]
	v_lshrrev_b32_sdwa v5, v62, v5 dst_sel:DWORD dst_unused:UNUSED_PAD src0_sel:DWORD src1_sel:WORD_0
	v_and_b32_e32 v5, 2, v5
	v_cvt_f32_ubyte0_e32 v5, v5
	v_sub_f32_e32 v5, 1.0, v5
	s_waitcnt vmcnt(0)
	v_mul_f32_e32 v5, v5, v67
	v_mul_f32_e32 v5, v0, v5
	v_and_b32_e32 v67, 0x7f800000, v5
	v_cmp_ne_u32_e32 vcc, s12, v67
                                        ; implicit-def: $vgpr67
	s_and_saveexec_b64 s[2:3], vcc
	s_xor_b64 s[2:3], exec, s[2:3]
; %bb.22:                               ;   in Loop: Header=BB159_3 Depth=1
	v_bfe_u32 v67, v5, 16, 1
	v_add3_u32 v67, v5, v67, s13
                                        ; implicit-def: $vgpr5
; %bb.23:                               ;   in Loop: Header=BB159_3 Depth=1
	s_andn2_saveexec_b64 s[2:3], s[2:3]
; %bb.24:                               ;   in Loop: Header=BB159_3 Depth=1
	v_or_b32_e32 v67, 0x10000, v5
	v_cmp_eq_u32_sdwa vcc, v5, v1 src0_sel:WORD_0 src1_sel:DWORD
	v_cndmask_b32_e32 v67, v67, v5, vcc
; %bb.25:                               ;   in Loop: Header=BB159_3 Depth=1
	s_or_b64 exec, exec, s[2:3]
	v_and_b32_e32 v5, 7, v4
	v_lshlrev_b32_e32 v5, 2, v5
	s_getpc_b64 s[2:3]
	s_add_u32 s2, s2, _ZL22fp4_dequantization_lut@rel32@lo+4
	s_addc_u32 s3, s3, _ZL22fp4_dequantization_lut@rel32@hi+12
	global_load_dword v5, v5, s[2:3]
	v_lshrrev_b16_e32 v4, 2, v4
	v_and_b32_e32 v4, 2, v4
	v_cvt_f32_ubyte0_e32 v4, v4
	v_sub_f32_e32 v4, 1.0, v4
                                        ; implicit-def: $vgpr68
	s_waitcnt vmcnt(0)
	v_mul_f32_e32 v4, v4, v5
	v_mul_f32_e32 v4, v0, v4
	v_and_b32_e32 v5, 0x7f800000, v4
	v_cmp_ne_u32_e32 vcc, s12, v5
	s_and_saveexec_b64 s[2:3], vcc
	s_xor_b64 s[2:3], exec, s[2:3]
; %bb.26:                               ;   in Loop: Header=BB159_3 Depth=1
	v_bfe_u32 v5, v4, 16, 1
	v_add3_u32 v68, v4, v5, s13
                                        ; implicit-def: $vgpr4
; %bb.27:                               ;   in Loop: Header=BB159_3 Depth=1
	s_andn2_saveexec_b64 s[2:3], s[2:3]
; %bb.28:                               ;   in Loop: Header=BB159_3 Depth=1
	v_or_b32_e32 v5, 0x10000, v4
	v_cmp_eq_u32_sdwa vcc, v4, v1 src0_sel:WORD_0 src1_sel:DWORD
	v_cndmask_b32_e32 v68, v5, v4, vcc
; %bb.29:                               ;   in Loop: Header=BB159_3 Depth=1
	s_or_b64 exec, exec, s[2:3]
	v_lshrrev_b32_e32 v4, 18, v2
	v_and_b32_e32 v4, 28, v4
	s_getpc_b64 s[2:3]
	s_add_u32 s2, s2, _ZL22fp4_dequantization_lut@rel32@lo+4
	s_addc_u32 s3, s3, _ZL22fp4_dequantization_lut@rel32@hi+12
	global_load_dword v4, v4, s[2:3]
	v_lshrrev_b32_e32 v5, 22, v2
	v_and_b32_e32 v5, 2, v5
	v_cvt_f32_ubyte0_e32 v5, v5
	v_sub_f32_e32 v5, 1.0, v5
                                        ; implicit-def: $vgpr69
	s_waitcnt vmcnt(0)
	v_mul_f32_e32 v4, v5, v4
	v_mul_f32_e32 v4, v0, v4
	v_and_b32_e32 v5, 0x7f800000, v4
	v_cmp_ne_u32_e32 vcc, s12, v5
	s_and_saveexec_b64 s[2:3], vcc
	s_xor_b64 s[2:3], exec, s[2:3]
; %bb.30:                               ;   in Loop: Header=BB159_3 Depth=1
	v_bfe_u32 v5, v4, 16, 1
	v_add3_u32 v69, v4, v5, s13
                                        ; implicit-def: $vgpr4
; %bb.31:                               ;   in Loop: Header=BB159_3 Depth=1
	s_andn2_saveexec_b64 s[2:3], s[2:3]
; %bb.32:                               ;   in Loop: Header=BB159_3 Depth=1
	v_or_b32_e32 v5, 0x10000, v4
	v_cmp_eq_u32_sdwa vcc, v4, v1 src0_sel:WORD_0 src1_sel:DWORD
	v_cndmask_b32_e32 v69, v5, v4, vcc
; %bb.33:                               ;   in Loop: Header=BB159_3 Depth=1
	s_or_b64 exec, exec, s[2:3]
	v_and_b32_sdwa v4, v2, v63 dst_sel:DWORD dst_unused:UNUSED_PAD src0_sel:WORD_1 src1_sel:DWORD
	v_lshlrev_b32_e32 v4, 2, v4
	s_getpc_b64 s[2:3]
	s_add_u32 s2, s2, _ZL22fp4_dequantization_lut@rel32@lo+4
	s_addc_u32 s3, s3, _ZL22fp4_dequantization_lut@rel32@hi+12
	global_load_dword v4, v4, s[2:3]
	v_lshrrev_b16_sdwa v5, v62, v2 dst_sel:DWORD dst_unused:UNUSED_PAD src0_sel:DWORD src1_sel:WORD_1
	v_and_b32_e32 v5, 2, v5
	v_cvt_f32_ubyte0_e32 v5, v5
	v_sub_f32_e32 v5, 1.0, v5
                                        ; implicit-def: $vgpr70
	s_waitcnt vmcnt(0)
	v_mul_f32_e32 v4, v5, v4
	v_mul_f32_e32 v4, v0, v4
	v_and_b32_e32 v5, 0x7f800000, v4
	v_cmp_ne_u32_e32 vcc, s12, v5
	s_and_saveexec_b64 s[2:3], vcc
	s_xor_b64 s[2:3], exec, s[2:3]
; %bb.34:                               ;   in Loop: Header=BB159_3 Depth=1
	v_bfe_u32 v5, v4, 16, 1
	v_add3_u32 v70, v4, v5, s13
                                        ; implicit-def: $vgpr4
; %bb.35:                               ;   in Loop: Header=BB159_3 Depth=1
	s_andn2_saveexec_b64 s[2:3], s[2:3]
; %bb.36:                               ;   in Loop: Header=BB159_3 Depth=1
	v_or_b32_e32 v5, 0x10000, v4
	v_cmp_eq_u32_sdwa vcc, v4, v1 src0_sel:WORD_0 src1_sel:DWORD
	v_cndmask_b32_e32 v70, v5, v4, vcc
; %bb.37:                               ;   in Loop: Header=BB159_3 Depth=1
	s_or_b64 exec, exec, s[2:3]
	v_lshrrev_b64 v[4:5], 24, v[2:3]
	v_lshrrev_b16_e32 v2, 4, v4
	v_and_b32_e32 v2, 15, v2
	v_and_b32_sdwa v5, v2, v63 dst_sel:DWORD dst_unused:UNUSED_PAD src0_sel:WORD_0 src1_sel:DWORD
	v_lshlrev_b32_e32 v5, 2, v5
	s_getpc_b64 s[2:3]
	s_add_u32 s2, s2, _ZL22fp4_dequantization_lut@rel32@lo+4
	s_addc_u32 s3, s3, _ZL22fp4_dequantization_lut@rel32@hi+12
	global_load_dword v5, v5, s[2:3]
	v_lshrrev_b32_sdwa v2, v62, v2 dst_sel:DWORD dst_unused:UNUSED_PAD src0_sel:DWORD src1_sel:WORD_0
	v_and_b32_e32 v2, 2, v2
	v_cvt_f32_ubyte0_e32 v2, v2
	v_sub_f32_e32 v2, 1.0, v2
	s_waitcnt vmcnt(0)
	v_mul_f32_e32 v2, v2, v5
	v_mul_f32_e32 v5, v0, v2
	v_and_b32_e32 v2, 0x7f800000, v5
	v_cmp_ne_u32_e32 vcc, s12, v2
                                        ; implicit-def: $vgpr2
	s_and_saveexec_b64 s[2:3], vcc
	s_xor_b64 s[2:3], exec, s[2:3]
; %bb.38:                               ;   in Loop: Header=BB159_3 Depth=1
	v_bfe_u32 v2, v5, 16, 1
	v_add3_u32 v2, v5, v2, s13
                                        ; implicit-def: $vgpr5
; %bb.39:                               ;   in Loop: Header=BB159_3 Depth=1
	s_andn2_saveexec_b64 s[2:3], s[2:3]
; %bb.40:                               ;   in Loop: Header=BB159_3 Depth=1
	v_or_b32_e32 v2, 0x10000, v5
	v_cmp_eq_u32_sdwa vcc, v5, v1 src0_sel:WORD_0 src1_sel:DWORD
	v_cndmask_b32_e32 v2, v2, v5, vcc
; %bb.41:                               ;   in Loop: Header=BB159_3 Depth=1
	s_or_b64 exec, exec, s[2:3]
	v_and_b32_e32 v5, 7, v4
	v_lshlrev_b32_e32 v5, 2, v5
	s_getpc_b64 s[2:3]
	s_add_u32 s2, s2, _ZL22fp4_dequantization_lut@rel32@lo+4
	s_addc_u32 s3, s3, _ZL22fp4_dequantization_lut@rel32@hi+12
	global_load_dword v5, v5, s[2:3]
	v_lshrrev_b16_e32 v4, 2, v4
	v_and_b32_e32 v4, 2, v4
	v_cvt_f32_ubyte0_e32 v4, v4
	v_sub_f32_e32 v4, 1.0, v4
	s_waitcnt vmcnt(0)
	v_mul_f32_e32 v4, v4, v5
	v_mul_f32_e32 v5, v0, v4
	v_and_b32_e32 v4, 0x7f800000, v5
	v_cmp_ne_u32_e32 vcc, s12, v4
                                        ; implicit-def: $vgpr4
	s_and_saveexec_b64 s[2:3], vcc
	s_xor_b64 s[2:3], exec, s[2:3]
; %bb.42:                               ;   in Loop: Header=BB159_3 Depth=1
	v_bfe_u32 v4, v5, 16, 1
	v_add3_u32 v4, v5, v4, s13
                                        ; implicit-def: $vgpr5
; %bb.43:                               ;   in Loop: Header=BB159_3 Depth=1
	s_andn2_saveexec_b64 s[2:3], s[2:3]
; %bb.44:                               ;   in Loop: Header=BB159_3 Depth=1
	v_or_b32_e32 v4, 0x10000, v5
	v_cmp_eq_u32_sdwa vcc, v5, v1 src0_sel:WORD_0 src1_sel:DWORD
	v_cndmask_b32_e32 v4, v4, v5, vcc
; %bb.45:                               ;   in Loop: Header=BB159_3 Depth=1
	s_or_b64 exec, exec, s[2:3]
	v_lshrrev_b16_e32 v5, 4, v3
	v_and_b32_e32 v5, 15, v5
	v_and_b32_sdwa v71, v5, v63 dst_sel:DWORD dst_unused:UNUSED_PAD src0_sel:WORD_0 src1_sel:DWORD
	v_lshlrev_b32_e32 v71, 2, v71
	s_getpc_b64 s[2:3]
	s_add_u32 s2, s2, _ZL22fp4_dequantization_lut@rel32@lo+4
	s_addc_u32 s3, s3, _ZL22fp4_dequantization_lut@rel32@hi+12
	global_load_dword v71, v71, s[2:3]
	v_lshrrev_b32_sdwa v5, v62, v5 dst_sel:DWORD dst_unused:UNUSED_PAD src0_sel:DWORD src1_sel:WORD_0
	v_and_b32_e32 v5, 2, v5
	v_cvt_f32_ubyte0_e32 v5, v5
	v_sub_f32_e32 v5, 1.0, v5
	s_waitcnt vmcnt(0)
	v_mul_f32_e32 v5, v5, v71
	v_mul_f32_e32 v71, v0, v5
	v_and_b32_e32 v5, 0x7f800000, v71
	v_cmp_ne_u32_e32 vcc, s12, v5
                                        ; implicit-def: $vgpr5
	s_and_saveexec_b64 s[2:3], vcc
	s_xor_b64 s[2:3], exec, s[2:3]
; %bb.46:                               ;   in Loop: Header=BB159_3 Depth=1
	v_bfe_u32 v5, v71, 16, 1
	v_add3_u32 v5, v71, v5, s13
                                        ; implicit-def: $vgpr71
; %bb.47:                               ;   in Loop: Header=BB159_3 Depth=1
	s_andn2_saveexec_b64 s[2:3], s[2:3]
; %bb.48:                               ;   in Loop: Header=BB159_3 Depth=1
	v_or_b32_e32 v5, 0x10000, v71
	v_cmp_eq_u32_sdwa vcc, v71, v1 src0_sel:WORD_0 src1_sel:DWORD
	v_cndmask_b32_e32 v5, v5, v71, vcc
; %bb.49:                               ;   in Loop: Header=BB159_3 Depth=1
	s_or_b64 exec, exec, s[2:3]
	v_and_b32_e32 v71, 7, v3
	v_lshlrev_b32_e32 v71, 2, v71
	s_getpc_b64 s[2:3]
	s_add_u32 s2, s2, _ZL22fp4_dequantization_lut@rel32@lo+4
	s_addc_u32 s3, s3, _ZL22fp4_dequantization_lut@rel32@hi+12
	global_load_dword v71, v71, s[2:3]
	v_lshrrev_b16_e32 v72, 2, v3
	v_and_b32_e32 v72, 2, v72
	v_cvt_f32_ubyte0_e32 v72, v72
	v_sub_f32_e32 v72, 1.0, v72
	s_waitcnt vmcnt(0)
	v_mul_f32_e32 v71, v72, v71
	v_mul_f32_e32 v72, v0, v71
	v_and_b32_e32 v71, 0x7f800000, v72
	v_cmp_ne_u32_e32 vcc, s12, v71
                                        ; implicit-def: $vgpr71
	s_and_saveexec_b64 s[2:3], vcc
	s_xor_b64 s[2:3], exec, s[2:3]
; %bb.50:                               ;   in Loop: Header=BB159_3 Depth=1
	v_bfe_u32 v71, v72, 16, 1
	v_add3_u32 v71, v72, v71, s13
                                        ; implicit-def: $vgpr72
; %bb.51:                               ;   in Loop: Header=BB159_3 Depth=1
	s_andn2_saveexec_b64 s[2:3], s[2:3]
; %bb.52:                               ;   in Loop: Header=BB159_3 Depth=1
	v_or_b32_e32 v71, 0x10000, v72
	v_cmp_eq_u32_sdwa vcc, v72, v1 src0_sel:WORD_0 src1_sel:DWORD
	v_cndmask_b32_e32 v71, v71, v72, vcc
; %bb.53:                               ;   in Loop: Header=BB159_3 Depth=1
	s_or_b64 exec, exec, s[2:3]
	v_lshrrev_b32_e32 v73, 8, v3
	v_lshrrev_b16_e32 v72, 4, v73
	v_and_b32_e32 v72, 15, v72
	v_and_b32_sdwa v74, v72, v63 dst_sel:DWORD dst_unused:UNUSED_PAD src0_sel:WORD_0 src1_sel:DWORD
	v_lshlrev_b32_e32 v74, 2, v74
	s_getpc_b64 s[2:3]
	s_add_u32 s2, s2, _ZL22fp4_dequantization_lut@rel32@lo+4
	s_addc_u32 s3, s3, _ZL22fp4_dequantization_lut@rel32@hi+12
	global_load_dword v74, v74, s[2:3]
	v_lshrrev_b32_sdwa v72, v62, v72 dst_sel:DWORD dst_unused:UNUSED_PAD src0_sel:DWORD src1_sel:WORD_0
	v_and_b32_e32 v72, 2, v72
	v_cvt_f32_ubyte0_e32 v72, v72
	v_sub_f32_e32 v72, 1.0, v72
	s_waitcnt vmcnt(0)
	v_mul_f32_e32 v72, v72, v74
	v_mul_f32_e32 v74, v0, v72
	v_and_b32_e32 v72, 0x7f800000, v74
	v_cmp_ne_u32_e32 vcc, s12, v72
                                        ; implicit-def: $vgpr72
	s_and_saveexec_b64 s[2:3], vcc
	s_xor_b64 s[2:3], exec, s[2:3]
; %bb.54:                               ;   in Loop: Header=BB159_3 Depth=1
	v_bfe_u32 v72, v74, 16, 1
	v_add3_u32 v72, v74, v72, s13
                                        ; implicit-def: $vgpr74
; %bb.55:                               ;   in Loop: Header=BB159_3 Depth=1
	s_andn2_saveexec_b64 s[2:3], s[2:3]
; %bb.56:                               ;   in Loop: Header=BB159_3 Depth=1
	v_or_b32_e32 v72, 0x10000, v74
	v_cmp_eq_u32_sdwa vcc, v74, v1 src0_sel:WORD_0 src1_sel:DWORD
	v_cndmask_b32_e32 v72, v72, v74, vcc
; %bb.57:                               ;   in Loop: Header=BB159_3 Depth=1
	s_or_b64 exec, exec, s[2:3]
	v_and_b32_e32 v74, 7, v73
	v_lshlrev_b32_e32 v74, 2, v74
	s_getpc_b64 s[2:3]
	s_add_u32 s2, s2, _ZL22fp4_dequantization_lut@rel32@lo+4
	s_addc_u32 s3, s3, _ZL22fp4_dequantization_lut@rel32@hi+12
	global_load_dword v74, v74, s[2:3]
	v_lshrrev_b16_e32 v73, 2, v73
	v_and_b32_e32 v73, 2, v73
	v_cvt_f32_ubyte0_e32 v73, v73
	v_sub_f32_e32 v73, 1.0, v73
	s_waitcnt vmcnt(0)
	v_mul_f32_e32 v73, v73, v74
	v_mul_f32_e32 v74, v0, v73
	v_and_b32_e32 v73, 0x7f800000, v74
	v_cmp_ne_u32_e32 vcc, s12, v73
                                        ; implicit-def: $vgpr73
	s_and_saveexec_b64 s[2:3], vcc
	s_xor_b64 s[2:3], exec, s[2:3]
; %bb.58:                               ;   in Loop: Header=BB159_3 Depth=1
	v_bfe_u32 v73, v74, 16, 1
	v_add3_u32 v73, v74, v73, s13
                                        ; implicit-def: $vgpr74
; %bb.59:                               ;   in Loop: Header=BB159_3 Depth=1
	s_andn2_saveexec_b64 s[2:3], s[2:3]
; %bb.60:                               ;   in Loop: Header=BB159_3 Depth=1
	v_or_b32_e32 v73, 0x10000, v74
	v_cmp_eq_u32_sdwa vcc, v74, v1 src0_sel:WORD_0 src1_sel:DWORD
	v_cndmask_b32_e32 v73, v73, v74, vcc
; %bb.61:                               ;   in Loop: Header=BB159_3 Depth=1
	s_or_b64 exec, exec, s[2:3]
	v_lshrrev_b32_e32 v74, 18, v3
	v_and_b32_e32 v74, 28, v74
	s_getpc_b64 s[2:3]
	s_add_u32 s2, s2, _ZL22fp4_dequantization_lut@rel32@lo+4
	s_addc_u32 s3, s3, _ZL22fp4_dequantization_lut@rel32@hi+12
	global_load_dword v74, v74, s[2:3]
	v_lshrrev_b32_e32 v75, 22, v3
	v_and_b32_e32 v75, 2, v75
	v_cvt_f32_ubyte0_e32 v75, v75
	v_sub_f32_e32 v75, 1.0, v75
	s_waitcnt vmcnt(0)
	v_mul_f32_e32 v74, v75, v74
	v_mul_f32_e32 v75, v0, v74
	v_and_b32_e32 v74, 0x7f800000, v75
	v_cmp_ne_u32_e32 vcc, s12, v74
                                        ; implicit-def: $vgpr74
	s_and_saveexec_b64 s[2:3], vcc
	s_xor_b64 s[2:3], exec, s[2:3]
; %bb.62:                               ;   in Loop: Header=BB159_3 Depth=1
	v_bfe_u32 v74, v75, 16, 1
	v_add3_u32 v74, v75, v74, s13
                                        ; implicit-def: $vgpr75
; %bb.63:                               ;   in Loop: Header=BB159_3 Depth=1
	s_andn2_saveexec_b64 s[2:3], s[2:3]
; %bb.64:                               ;   in Loop: Header=BB159_3 Depth=1
	v_or_b32_e32 v74, 0x10000, v75
	v_cmp_eq_u32_sdwa vcc, v75, v1 src0_sel:WORD_0 src1_sel:DWORD
	v_cndmask_b32_e32 v74, v74, v75, vcc
; %bb.65:                               ;   in Loop: Header=BB159_3 Depth=1
	s_or_b64 exec, exec, s[2:3]
	v_and_b32_sdwa v75, v3, v63 dst_sel:DWORD dst_unused:UNUSED_PAD src0_sel:WORD_1 src1_sel:DWORD
	v_lshlrev_b32_e32 v75, 2, v75
	s_getpc_b64 s[2:3]
	s_add_u32 s2, s2, _ZL22fp4_dequantization_lut@rel32@lo+4
	s_addc_u32 s3, s3, _ZL22fp4_dequantization_lut@rel32@hi+12
	global_load_dword v75, v75, s[2:3]
	v_lshrrev_b16_sdwa v76, v62, v3 dst_sel:DWORD dst_unused:UNUSED_PAD src0_sel:DWORD src1_sel:WORD_1
	v_and_b32_e32 v76, 2, v76
	v_cvt_f32_ubyte0_e32 v76, v76
	v_sub_f32_e32 v76, 1.0, v76
	s_waitcnt vmcnt(0)
	v_mul_f32_e32 v75, v76, v75
	v_mul_f32_e32 v76, v0, v75
	v_and_b32_e32 v75, 0x7f800000, v76
	v_cmp_ne_u32_e32 vcc, s12, v75
                                        ; implicit-def: $vgpr75
	s_and_saveexec_b64 s[2:3], vcc
	s_xor_b64 s[2:3], exec, s[2:3]
; %bb.66:                               ;   in Loop: Header=BB159_3 Depth=1
	v_bfe_u32 v75, v76, 16, 1
	v_add3_u32 v75, v76, v75, s13
                                        ; implicit-def: $vgpr76
; %bb.67:                               ;   in Loop: Header=BB159_3 Depth=1
	s_andn2_saveexec_b64 s[2:3], s[2:3]
; %bb.68:                               ;   in Loop: Header=BB159_3 Depth=1
	v_or_b32_e32 v75, 0x10000, v76
	v_cmp_eq_u32_sdwa vcc, v76, v1 src0_sel:WORD_0 src1_sel:DWORD
	v_cndmask_b32_e32 v75, v75, v76, vcc
; %bb.69:                               ;   in Loop: Header=BB159_3 Depth=1
	s_or_b64 exec, exec, s[2:3]
	v_lshrrev_b16_sdwa v76, v64, v3 dst_sel:DWORD dst_unused:UNUSED_PAD src0_sel:DWORD src1_sel:BYTE_3
	v_and_b32_e32 v77, 7, v76
	v_lshlrev_b32_e32 v77, 2, v77
	s_getpc_b64 s[2:3]
	s_add_u32 s2, s2, _ZL22fp4_dequantization_lut@rel32@lo+4
	s_addc_u32 s3, s3, _ZL22fp4_dequantization_lut@rel32@hi+12
	global_load_dword v77, v77, s[2:3]
	v_lshrrev_b32_e32 v76, 2, v76
	v_and_b32_e32 v76, 2, v76
	v_cvt_f32_ubyte0_e32 v76, v76
	v_sub_f32_e32 v76, 1.0, v76
	s_waitcnt vmcnt(0)
	v_mul_f32_e32 v76, v76, v77
	v_mul_f32_e32 v77, v0, v76
	v_and_b32_e32 v76, 0x7f800000, v77
	v_cmp_ne_u32_e32 vcc, s12, v76
                                        ; implicit-def: $vgpr76
	s_and_saveexec_b64 s[2:3], vcc
	s_xor_b64 s[2:3], exec, s[2:3]
; %bb.70:                               ;   in Loop: Header=BB159_3 Depth=1
	v_bfe_u32 v76, v77, 16, 1
	v_add3_u32 v76, v77, v76, s13
                                        ; implicit-def: $vgpr77
; %bb.71:                               ;   in Loop: Header=BB159_3 Depth=1
	s_andn2_saveexec_b64 s[2:3], s[2:3]
; %bb.72:                               ;   in Loop: Header=BB159_3 Depth=1
	v_or_b32_e32 v76, 0x10000, v77
	v_cmp_eq_u32_sdwa vcc, v77, v1 src0_sel:WORD_0 src1_sel:DWORD
	v_cndmask_b32_e32 v76, v76, v77, vcc
; %bb.73:                               ;   in Loop: Header=BB159_3 Depth=1
	s_or_b64 exec, exec, s[2:3]
	v_and_b32_sdwa v3, s9, v3 dst_sel:DWORD dst_unused:UNUSED_PAD src0_sel:DWORD src1_sel:BYTE_3
	v_and_b32_e32 v77, 7, v3
	v_lshlrev_b32_e32 v77, 2, v77
	s_getpc_b64 s[2:3]
	s_add_u32 s2, s2, _ZL22fp4_dequantization_lut@rel32@lo+4
	s_addc_u32 s3, s3, _ZL22fp4_dequantization_lut@rel32@hi+12
	global_load_dword v77, v77, s[2:3]
	v_lshrrev_b32_e32 v3, 2, v3
	v_and_b32_e32 v3, 2, v3
	v_cvt_f32_ubyte0_e32 v3, v3
	v_sub_f32_e32 v3, 1.0, v3
	s_waitcnt vmcnt(0)
	v_mul_f32_e32 v3, v3, v77
	v_mul_f32_e32 v3, v0, v3
	v_and_b32_e32 v0, 0x7f800000, v3
	v_cmp_ne_u32_e32 vcc, s12, v0
                                        ; implicit-def: $vgpr0
	s_and_saveexec_b64 s[2:3], vcc
	s_xor_b64 s[2:3], exec, s[2:3]
; %bb.74:                               ;   in Loop: Header=BB159_3 Depth=1
	v_bfe_u32 v0, v3, 16, 1
	v_add3_u32 v0, v3, v0, s13
                                        ; implicit-def: $vgpr3
; %bb.75:                               ;   in Loop: Header=BB159_3 Depth=1
	s_andn2_saveexec_b64 s[2:3], s[2:3]
; %bb.76:                               ;   in Loop: Header=BB159_3 Depth=1
	v_or_b32_e32 v0, 0x10000, v3
	v_cmp_eq_u32_sdwa vcc, v3, v1 src0_sel:WORD_0 src1_sel:DWORD
	v_cndmask_b32_e32 v0, v0, v3, vcc
; %bb.77:                               ;   in Loop: Header=BB159_3 Depth=1
	s_or_b64 exec, exec, s[2:3]
	v_perm_b32 v81, v4, v2, s14
	v_perm_b32 v80, v70, v69, s14
	;; [unrolled: 1-line block ×8, first 2 shown]
	s_barrier
	ds_write_b128 v26, v[78:81]
	ds_write_b128 v26, v[66:69] offset:16
	; wave barrier
	ds_read_u16 v76, v30
	ds_read_u16 v75, v32
	;; [unrolled: 1-line block ×15, first 2 shown]
	s_ashr_i32 s1, s0, 31
	s_lshl_b64 s[2:3], s[0:1], 1
	v_mov_b32_e32 v3, s3
	v_add_co_u32_e32 v2, vcc, s2, v59
	s_min_i32 s11, s6, 0x400
	v_addc_co_u32_e32 v3, vcc, v60, v3, vcc
	v_cmp_gt_u32_e32 vcc, s11, v27
	s_and_saveexec_b64 s[2:3], vcc
	s_xor_b64 s[2:3], exec, s[2:3]
	s_cbranch_execnz .LBB159_99
; %bb.78:                               ;   in Loop: Header=BB159_3 Depth=1
	s_or_b64 exec, exec, s[2:3]
	v_cmp_gt_u32_e32 vcc, s11, v29
	s_and_saveexec_b64 s[2:3], vcc
	s_cbranch_execnz .LBB159_100
.LBB159_79:                             ;   in Loop: Header=BB159_3 Depth=1
	s_or_b64 exec, exec, s[2:3]
	v_cmp_gt_u32_e32 vcc, s11, v31
	s_and_saveexec_b64 s[2:3], vcc
	s_cbranch_execnz .LBB159_101
.LBB159_80:                             ;   in Loop: Header=BB159_3 Depth=1
	s_or_b64 exec, exec, s[2:3]
	v_cmp_gt_u32_e32 vcc, s11, v33
	s_and_saveexec_b64 s[2:3], vcc
	s_cbranch_execnz .LBB159_102
.LBB159_81:                             ;   in Loop: Header=BB159_3 Depth=1
	s_or_b64 exec, exec, s[2:3]
	v_cmp_gt_u32_e32 vcc, s11, v35
	s_and_saveexec_b64 s[2:3], vcc
	s_cbranch_execnz .LBB159_103
.LBB159_82:                             ;   in Loop: Header=BB159_3 Depth=1
	s_or_b64 exec, exec, s[2:3]
	v_cmp_gt_u32_e32 vcc, s11, v37
	s_and_saveexec_b64 s[2:3], vcc
	s_cbranch_execnz .LBB159_104
.LBB159_83:                             ;   in Loop: Header=BB159_3 Depth=1
	s_or_b64 exec, exec, s[2:3]
	v_cmp_gt_u32_e32 vcc, s11, v39
	s_and_saveexec_b64 s[2:3], vcc
	s_cbranch_execnz .LBB159_105
.LBB159_84:                             ;   in Loop: Header=BB159_3 Depth=1
	s_or_b64 exec, exec, s[2:3]
	v_cmp_gt_u32_e32 vcc, s11, v41
	s_and_saveexec_b64 s[2:3], vcc
	s_cbranch_execnz .LBB159_106
.LBB159_85:                             ;   in Loop: Header=BB159_3 Depth=1
	s_or_b64 exec, exec, s[2:3]
	v_cmp_gt_u32_e32 vcc, s11, v43
	s_and_saveexec_b64 s[2:3], vcc
	s_cbranch_execnz .LBB159_107
.LBB159_86:                             ;   in Loop: Header=BB159_3 Depth=1
	s_or_b64 exec, exec, s[2:3]
	v_cmp_gt_u32_e32 vcc, s11, v45
	s_and_saveexec_b64 s[2:3], vcc
	s_cbranch_execnz .LBB159_108
.LBB159_87:                             ;   in Loop: Header=BB159_3 Depth=1
	s_or_b64 exec, exec, s[2:3]
	v_cmp_gt_u32_e32 vcc, s11, v47
	s_and_saveexec_b64 s[2:3], vcc
	s_cbranch_execnz .LBB159_109
.LBB159_88:                             ;   in Loop: Header=BB159_3 Depth=1
	s_or_b64 exec, exec, s[2:3]
	v_cmp_gt_u32_e32 vcc, s11, v49
	s_and_saveexec_b64 s[2:3], vcc
	s_cbranch_execnz .LBB159_110
.LBB159_89:                             ;   in Loop: Header=BB159_3 Depth=1
	s_or_b64 exec, exec, s[2:3]
	v_cmp_gt_u32_e32 vcc, s11, v51
	s_and_saveexec_b64 s[2:3], vcc
	s_cbranch_execnz .LBB159_111
.LBB159_90:                             ;   in Loop: Header=BB159_3 Depth=1
	s_or_b64 exec, exec, s[2:3]
	v_cmp_gt_u32_e32 vcc, s11, v53
	s_and_saveexec_b64 s[2:3], vcc
	s_cbranch_execnz .LBB159_112
.LBB159_91:                             ;   in Loop: Header=BB159_3 Depth=1
	s_or_b64 exec, exec, s[2:3]
	v_cmp_gt_u32_e32 vcc, s11, v55
	s_and_saveexec_b64 s[2:3], vcc
	s_cbranch_execnz .LBB159_113
.LBB159_92:                             ;   in Loop: Header=BB159_3 Depth=1
	s_or_b64 exec, exec, s[2:3]
	v_cmp_gt_u32_e32 vcc, s11, v57
	s_and_saveexec_b64 s[2:3], vcc
	s_cbranch_execz .LBB159_2
	s_branch .LBB159_114
.LBB159_93:                             ;   in Loop: Header=BB159_3 Depth=1
	global_load_ubyte v70, v[2:3], off offset:64
	s_or_b64 exec, exec, s[2:3]
	v_cmp_gt_u32_e32 vcc, s1, v11
	s_and_saveexec_b64 s[2:3], vcc
	s_cbranch_execz .LBB159_7
.LBB159_94:                             ;   in Loop: Header=BB159_3 Depth=1
	global_load_ubyte v4, v[2:3], off offset:128
	s_or_b64 exec, exec, s[2:3]
	v_cmp_gt_u32_e32 vcc, s1, v12
	s_and_saveexec_b64 s[2:3], vcc
	s_cbranch_execz .LBB159_8
.LBB159_95:                             ;   in Loop: Header=BB159_3 Depth=1
	global_load_ubyte v65, v[2:3], off offset:192
	s_or_b64 exec, exec, s[2:3]
	v_cmp_gt_u32_e32 vcc, s1, v13
	s_and_saveexec_b64 s[2:3], vcc
	s_cbranch_execz .LBB159_9
.LBB159_96:                             ;   in Loop: Header=BB159_3 Depth=1
	global_load_ubyte v66, v[2:3], off offset:256
	s_or_b64 exec, exec, s[2:3]
	v_cmp_gt_u32_e32 vcc, s1, v14
	s_and_saveexec_b64 s[2:3], vcc
	s_cbranch_execz .LBB159_10
.LBB159_97:                             ;   in Loop: Header=BB159_3 Depth=1
	global_load_ubyte v67, v[2:3], off offset:320
	s_or_b64 exec, exec, s[2:3]
	v_cmp_gt_u32_e32 vcc, s1, v15
	s_and_saveexec_b64 s[2:3], vcc
	s_cbranch_execz .LBB159_11
.LBB159_98:                             ;   in Loop: Header=BB159_3 Depth=1
	global_load_ubyte v68, v[2:3], off offset:384
	s_or_b64 exec, exec, s[2:3]
	v_cmp_gt_u32_e32 vcc, s1, v16
	s_and_saveexec_b64 s[2:3], vcc
	s_cbranch_execnz .LBB159_12
	s_branch .LBB159_13
.LBB159_99:                             ;   in Loop: Header=BB159_3 Depth=1
	ds_read_u16 v77, v28
	s_waitcnt lgkmcnt(0)
	global_store_short v[2:3], v77, off
	s_or_b64 exec, exec, s[2:3]
	v_cmp_gt_u32_e32 vcc, s11, v29
	s_and_saveexec_b64 s[2:3], vcc
	s_cbranch_execz .LBB159_79
.LBB159_100:                            ;   in Loop: Header=BB159_3 Depth=1
	s_waitcnt lgkmcnt(14)
	global_store_short v[2:3], v76, off offset:128
	s_or_b64 exec, exec, s[2:3]
	v_cmp_gt_u32_e32 vcc, s11, v31
	s_and_saveexec_b64 s[2:3], vcc
	s_cbranch_execz .LBB159_80
.LBB159_101:                            ;   in Loop: Header=BB159_3 Depth=1
	s_waitcnt lgkmcnt(13)
	global_store_short v[2:3], v75, off offset:256
	s_or_b64 exec, exec, s[2:3]
	v_cmp_gt_u32_e32 vcc, s11, v33
	s_and_saveexec_b64 s[2:3], vcc
	s_cbranch_execz .LBB159_81
.LBB159_102:                            ;   in Loop: Header=BB159_3 Depth=1
	s_waitcnt lgkmcnt(12)
	global_store_short v[2:3], v74, off offset:384
	s_or_b64 exec, exec, s[2:3]
	v_cmp_gt_u32_e32 vcc, s11, v35
	s_and_saveexec_b64 s[2:3], vcc
	s_cbranch_execz .LBB159_82
.LBB159_103:                            ;   in Loop: Header=BB159_3 Depth=1
	s_waitcnt lgkmcnt(11)
	global_store_short v[2:3], v73, off offset:512
	s_or_b64 exec, exec, s[2:3]
	v_cmp_gt_u32_e32 vcc, s11, v37
	s_and_saveexec_b64 s[2:3], vcc
	s_cbranch_execz .LBB159_83
.LBB159_104:                            ;   in Loop: Header=BB159_3 Depth=1
	s_waitcnt lgkmcnt(10)
	global_store_short v[2:3], v72, off offset:640
	s_or_b64 exec, exec, s[2:3]
	v_cmp_gt_u32_e32 vcc, s11, v39
	s_and_saveexec_b64 s[2:3], vcc
	s_cbranch_execz .LBB159_84
.LBB159_105:                            ;   in Loop: Header=BB159_3 Depth=1
	s_waitcnt lgkmcnt(9)
	global_store_short v[2:3], v71, off offset:768
	s_or_b64 exec, exec, s[2:3]
	v_cmp_gt_u32_e32 vcc, s11, v41
	s_and_saveexec_b64 s[2:3], vcc
	s_cbranch_execz .LBB159_85
.LBB159_106:                            ;   in Loop: Header=BB159_3 Depth=1
	s_waitcnt lgkmcnt(8)
	global_store_short v[2:3], v70, off offset:896
	s_or_b64 exec, exec, s[2:3]
	v_cmp_gt_u32_e32 vcc, s11, v43
	s_and_saveexec_b64 s[2:3], vcc
	s_cbranch_execz .LBB159_86
.LBB159_107:                            ;   in Loop: Header=BB159_3 Depth=1
	s_waitcnt lgkmcnt(7)
	global_store_short v[2:3], v69, off offset:1024
	s_or_b64 exec, exec, s[2:3]
	v_cmp_gt_u32_e32 vcc, s11, v45
	s_and_saveexec_b64 s[2:3], vcc
	s_cbranch_execz .LBB159_87
.LBB159_108:                            ;   in Loop: Header=BB159_3 Depth=1
	s_waitcnt lgkmcnt(6)
	global_store_short v[2:3], v68, off offset:1152
	s_or_b64 exec, exec, s[2:3]
	v_cmp_gt_u32_e32 vcc, s11, v47
	s_and_saveexec_b64 s[2:3], vcc
	s_cbranch_execz .LBB159_88
.LBB159_109:                            ;   in Loop: Header=BB159_3 Depth=1
	s_waitcnt lgkmcnt(5)
	global_store_short v[2:3], v67, off offset:1280
	s_or_b64 exec, exec, s[2:3]
	v_cmp_gt_u32_e32 vcc, s11, v49
	s_and_saveexec_b64 s[2:3], vcc
	s_cbranch_execz .LBB159_89
.LBB159_110:                            ;   in Loop: Header=BB159_3 Depth=1
	s_waitcnt lgkmcnt(4)
	global_store_short v[2:3], v66, off offset:1408
	s_or_b64 exec, exec, s[2:3]
	v_cmp_gt_u32_e32 vcc, s11, v51
	s_and_saveexec_b64 s[2:3], vcc
	s_cbranch_execz .LBB159_90
.LBB159_111:                            ;   in Loop: Header=BB159_3 Depth=1
	s_waitcnt lgkmcnt(3)
	global_store_short v[2:3], v65, off offset:1536
	s_or_b64 exec, exec, s[2:3]
	v_cmp_gt_u32_e32 vcc, s11, v53
	s_and_saveexec_b64 s[2:3], vcc
	s_cbranch_execz .LBB159_91
.LBB159_112:                            ;   in Loop: Header=BB159_3 Depth=1
	s_waitcnt lgkmcnt(2)
	global_store_short v[2:3], v5, off offset:1664
	s_or_b64 exec, exec, s[2:3]
	v_cmp_gt_u32_e32 vcc, s11, v55
	s_and_saveexec_b64 s[2:3], vcc
	s_cbranch_execz .LBB159_92
.LBB159_113:                            ;   in Loop: Header=BB159_3 Depth=1
	s_waitcnt lgkmcnt(1)
	global_store_short v[2:3], v4, off offset:1792
	s_or_b64 exec, exec, s[2:3]
	v_cmp_gt_u32_e32 vcc, s11, v57
	s_and_saveexec_b64 s[2:3], vcc
	s_cbranch_execz .LBB159_2
.LBB159_114:                            ;   in Loop: Header=BB159_3 Depth=1
	s_waitcnt lgkmcnt(0)
	global_store_short v[2:3], v0, off offset:1920
	s_branch .LBB159_2
.LBB159_115:
	s_endpgm
	.section	.rodata,"a",@progbits
	.p2align	6, 0x0
	.amdhsa_kernel _Z20kDequantizeBlockwiseI12hip_bfloat16Li512ELi64ELi8ELi1EEvPfPhS1_PT_ii
		.amdhsa_group_segment_fixed_size 2640
		.amdhsa_private_segment_fixed_size 0
		.amdhsa_kernarg_size 296
		.amdhsa_user_sgpr_count 6
		.amdhsa_user_sgpr_private_segment_buffer 1
		.amdhsa_user_sgpr_dispatch_ptr 0
		.amdhsa_user_sgpr_queue_ptr 0
		.amdhsa_user_sgpr_kernarg_segment_ptr 1
		.amdhsa_user_sgpr_dispatch_id 0
		.amdhsa_user_sgpr_flat_scratch_init 0
		.amdhsa_user_sgpr_kernarg_preload_length 0
		.amdhsa_user_sgpr_kernarg_preload_offset 0
		.amdhsa_user_sgpr_private_segment_size 0
		.amdhsa_uses_dynamic_stack 0
		.amdhsa_system_sgpr_private_segment_wavefront_offset 0
		.amdhsa_system_sgpr_workgroup_id_x 1
		.amdhsa_system_sgpr_workgroup_id_y 0
		.amdhsa_system_sgpr_workgroup_id_z 0
		.amdhsa_system_sgpr_workgroup_info 0
		.amdhsa_system_vgpr_workitem_id 0
		.amdhsa_next_free_vgpr 82
		.amdhsa_next_free_sgpr 17
		.amdhsa_accum_offset 84
		.amdhsa_reserve_vcc 1
		.amdhsa_reserve_flat_scratch 0
		.amdhsa_float_round_mode_32 0
		.amdhsa_float_round_mode_16_64 0
		.amdhsa_float_denorm_mode_32 3
		.amdhsa_float_denorm_mode_16_64 3
		.amdhsa_dx10_clamp 1
		.amdhsa_ieee_mode 1
		.amdhsa_fp16_overflow 0
		.amdhsa_tg_split 0
		.amdhsa_exception_fp_ieee_invalid_op 0
		.amdhsa_exception_fp_denorm_src 0
		.amdhsa_exception_fp_ieee_div_zero 0
		.amdhsa_exception_fp_ieee_overflow 0
		.amdhsa_exception_fp_ieee_underflow 0
		.amdhsa_exception_fp_ieee_inexact 0
		.amdhsa_exception_int_div_zero 0
	.end_amdhsa_kernel
	.section	.text._Z20kDequantizeBlockwiseI12hip_bfloat16Li512ELi64ELi8ELi1EEvPfPhS1_PT_ii,"axG",@progbits,_Z20kDequantizeBlockwiseI12hip_bfloat16Li512ELi64ELi8ELi1EEvPfPhS1_PT_ii,comdat
.Lfunc_end159:
	.size	_Z20kDequantizeBlockwiseI12hip_bfloat16Li512ELi64ELi8ELi1EEvPfPhS1_PT_ii, .Lfunc_end159-_Z20kDequantizeBlockwiseI12hip_bfloat16Li512ELi64ELi8ELi1EEvPfPhS1_PT_ii
                                        ; -- End function
	.section	.AMDGPU.csdata,"",@progbits
; Kernel info:
; codeLenInByte = 4588
; NumSgprs: 21
; NumVgprs: 82
; NumAgprs: 0
; TotalNumVgprs: 82
; ScratchSize: 0
; MemoryBound: 0
; FloatMode: 240
; IeeeMode: 1
; LDSByteSize: 2640 bytes/workgroup (compile time only)
; SGPRBlocks: 2
; VGPRBlocks: 10
; NumSGPRsForWavesPerEU: 21
; NumVGPRsForWavesPerEU: 82
; AccumOffset: 84
; Occupancy: 5
; WaveLimiterHint : 0
; COMPUTE_PGM_RSRC2:SCRATCH_EN: 0
; COMPUTE_PGM_RSRC2:USER_SGPR: 6
; COMPUTE_PGM_RSRC2:TRAP_HANDLER: 0
; COMPUTE_PGM_RSRC2:TGID_X_EN: 1
; COMPUTE_PGM_RSRC2:TGID_Y_EN: 0
; COMPUTE_PGM_RSRC2:TGID_Z_EN: 0
; COMPUTE_PGM_RSRC2:TIDIG_COMP_CNT: 0
; COMPUTE_PGM_RSRC3_GFX90A:ACCUM_OFFSET: 20
; COMPUTE_PGM_RSRC3_GFX90A:TG_SPLIT: 0
	.section	.text._Z20kDequantizeBlockwiseI12hip_bfloat16Li512ELi64ELi8ELi0EEvPfPhS1_PT_ii,"axG",@progbits,_Z20kDequantizeBlockwiseI12hip_bfloat16Li512ELi64ELi8ELi0EEvPfPhS1_PT_ii,comdat
